;; amdgpu-corpus repo=ROCm/rocFFT kind=compiled arch=gfx906 opt=O3
	.text
	.amdgcn_target "amdgcn-amd-amdhsa--gfx906"
	.amdhsa_code_object_version 6
	.protected	fft_rtc_fwd_len128_factors_8_4_4_wgs_128_tpt_16_dp_op_CI_CI_sbrc_unaligned ; -- Begin function fft_rtc_fwd_len128_factors_8_4_4_wgs_128_tpt_16_dp_op_CI_CI_sbrc_unaligned
	.globl	fft_rtc_fwd_len128_factors_8_4_4_wgs_128_tpt_16_dp_op_CI_CI_sbrc_unaligned
	.p2align	8
	.type	fft_rtc_fwd_len128_factors_8_4_4_wgs_128_tpt_16_dp_op_CI_CI_sbrc_unaligned,@function
fft_rtc_fwd_len128_factors_8_4_4_wgs_128_tpt_16_dp_op_CI_CI_sbrc_unaligned: ; @fft_rtc_fwd_len128_factors_8_4_4_wgs_128_tpt_16_dp_op_CI_CI_sbrc_unaligned
; %bb.0:
	s_load_dwordx8 s[8:15], s[4:5], 0x0
	s_mov_b32 s34, 0
	s_mov_b32 s30, 3
	s_mov_b64 s[36:37], 2
	s_mov_b32 s41, s34
	s_waitcnt lgkmcnt(0)
	s_load_dword s33, s[12:13], 0x8
	s_load_dwordx4 s[20:23], s[4:5], 0x58
	s_load_dwordx2 s[28:29], s[4:5], 0x20
	s_load_dwordx4 s[24:27], s[14:15], 0x0
	s_waitcnt lgkmcnt(0)
	s_add_i32 s0, s33, -1
	s_lshr_b32 s0, s0, 3
	s_add_i32 s7, s0, 1
	v_cvt_f32_u32_e32 v1, s7
	s_sub_i32 s2, 0, s7
	s_load_dwordx4 s[16:19], s[28:29], 0x0
	v_cmp_gt_u64_e64 s[0:1], s[10:11], 2
	v_rcp_iflag_f32_e32 v1, v1
	v_mul_f32_e32 v1, 0x4f7ffffe, v1
	v_cvt_u32_f32_e32 v1, v1
	v_readfirstlane_b32 s3, v1
	s_mul_i32 s2, s2, s3
	s_mul_hi_u32 s2, s3, s2
	s_add_i32 s3, s3, s2
	s_mul_hi_u32 s2, s6, s3
	s_mul_i32 s3, s2, s7
	s_sub_i32 s3, s6, s3
	s_add_i32 s4, s2, 1
	s_sub_i32 s5, s3, s7
	s_cmp_ge_u32 s3, s7
	s_cselect_b32 s2, s4, s2
	s_cselect_b32 s3, s5, s3
	s_add_i32 s4, s2, 1
	s_cmp_ge_u32 s3, s7
	s_waitcnt lgkmcnt(0)
	s_cselect_b32 s19, s4, s2
	s_mul_i32 s2, s19, s7
	s_sub_i32 s2, s6, s2
	s_lshl_b32 s40, s2, 3
	s_mul_i32 s3, s17, s40
	s_mul_hi_u32 s4, s16, s40
	s_mul_i32 s27, s40, s26
	s_mul_i32 s2, s16, s40
	s_add_i32 s3, s4, s3
	s_and_b64 vcc, exec, s[0:1]
	s_cbranch_vccz .LBB0_9
; %bb.1:
	v_mov_b32_e32 v1, s10
	v_mov_b32_e32 v2, s11
.LBB0_2:                                ; =>This Inner Loop Header: Depth=1
	s_lshl_b64 s[4:5], s[36:37], 3
	s_add_u32 s0, s12, s4
	s_addc_u32 s1, s13, s5
	s_load_dwordx2 s[36:37], s[0:1], 0x0
	s_waitcnt lgkmcnt(0)
	s_mov_b32 s35, s37
	s_cmp_lg_u64 s[34:35], 0
	s_cbranch_scc0 .LBB0_7
; %bb.3:                                ;   in Loop: Header=BB0_2 Depth=1
	v_cvt_f32_u32_e32 v3, s36
	v_cvt_f32_u32_e32 v4, s37
	s_sub_u32 s0, 0, s36
	s_subb_u32 s1, 0, s37
	v_mac_f32_e32 v3, 0x4f800000, v4
	v_rcp_f32_e32 v3, v3
	v_mul_f32_e32 v3, 0x5f7ffffc, v3
	v_mul_f32_e32 v4, 0x2f800000, v3
	v_trunc_f32_e32 v4, v4
	v_mac_f32_e32 v3, 0xcf800000, v4
	v_cvt_u32_f32_e32 v4, v4
	v_cvt_u32_f32_e32 v3, v3
	v_readfirstlane_b32 s31, v4
	v_readfirstlane_b32 s35, v3
	s_mul_i32 s38, s0, s31
	s_mul_hi_u32 s42, s0, s35
	s_mul_i32 s39, s1, s35
	s_add_i32 s38, s42, s38
	s_mul_i32 s43, s0, s35
	s_add_i32 s38, s38, s39
	s_mul_hi_u32 s39, s35, s38
	s_mul_i32 s42, s35, s38
	s_mul_hi_u32 s35, s35, s43
	s_add_u32 s35, s35, s42
	s_addc_u32 s39, 0, s39
	s_mul_hi_u32 s44, s31, s43
	s_mul_i32 s43, s31, s43
	s_add_u32 s35, s35, s43
	s_mul_hi_u32 s42, s31, s38
	s_addc_u32 s35, s39, s44
	s_addc_u32 s39, s42, 0
	s_mul_i32 s38, s31, s38
	s_add_u32 s35, s35, s38
	s_addc_u32 s38, 0, s39
	v_add_co_u32_e32 v3, vcc, s35, v3
	s_cmp_lg_u64 vcc, 0
	s_addc_u32 s31, s31, s38
	v_readfirstlane_b32 s38, v3
	s_mul_i32 s35, s0, s31
	s_mul_hi_u32 s39, s0, s38
	s_add_i32 s35, s39, s35
	s_mul_i32 s1, s1, s38
	s_add_i32 s35, s35, s1
	s_mul_i32 s0, s0, s38
	s_mul_hi_u32 s39, s31, s0
	s_mul_i32 s42, s31, s0
	s_mul_i32 s44, s38, s35
	s_mul_hi_u32 s0, s38, s0
	s_mul_hi_u32 s43, s38, s35
	s_add_u32 s0, s0, s44
	s_addc_u32 s38, 0, s43
	s_add_u32 s0, s0, s42
	s_mul_hi_u32 s1, s31, s35
	s_addc_u32 s0, s38, s39
	s_addc_u32 s1, s1, 0
	s_mul_i32 s35, s31, s35
	s_add_u32 s0, s0, s35
	s_addc_u32 s1, 0, s1
	v_add_co_u32_e32 v3, vcc, s0, v3
	s_cmp_lg_u64 vcc, 0
	s_addc_u32 s0, s31, s1
	v_readfirstlane_b32 s31, v3
	s_mul_hi_u32 s1, s19, s0
	s_mul_i32 s0, s19, s0
	s_mul_hi_u32 s31, s19, s31
	s_add_u32 s0, s31, s0
	s_addc_u32 s31, 0, s1
	s_mul_i32 s0, s37, s31
	s_mul_hi_u32 s1, s36, s31
	s_add_i32 s35, s1, s0
	s_mul_i32 s1, s36, s31
	v_mov_b32_e32 v3, s1
	s_sub_i32 s0, 0, s35
	v_sub_co_u32_e32 v3, vcc, s19, v3
	s_cmp_lg_u64 vcc, 0
	s_subb_u32 s38, s0, s37
	v_subrev_co_u32_e64 v4, s[0:1], s36, v3
	s_cmp_lg_u64 s[0:1], 0
	s_subb_u32 s0, s38, 0
	s_cmp_ge_u32 s0, s37
	v_readfirstlane_b32 s38, v4
	s_cselect_b32 s1, -1, 0
	s_cmp_ge_u32 s38, s36
	s_cselect_b32 s38, -1, 0
	s_cmp_eq_u32 s0, s37
	s_cselect_b32 s0, s38, s1
	s_add_u32 s1, s31, 1
	s_addc_u32 s38, 0, 0
	s_add_u32 s39, s31, 2
	s_addc_u32 s42, 0, 0
	s_cmp_lg_u32 s0, 0
	s_cselect_b32 s0, s39, s1
	s_cselect_b32 s1, s42, s38
	s_cmp_lg_u64 vcc, 0
	s_subb_u32 s35, 0, s35
	s_cmp_ge_u32 s35, s37
	v_readfirstlane_b32 s39, v3
	s_cselect_b32 s38, -1, 0
	s_cmp_ge_u32 s39, s36
	s_cselect_b32 s39, -1, 0
	s_cmp_eq_u32 s35, s37
	s_cselect_b32 s35, s39, s38
	s_cmp_lg_u32 s35, 0
	s_cselect_b32 s1, s1, 0
	s_cselect_b32 s0, s0, s31
	s_cbranch_execnz .LBB0_5
.LBB0_4:                                ;   in Loop: Header=BB0_2 Depth=1
	v_cvt_f32_u32_e32 v3, s36
	s_sub_i32 s0, 0, s36
	v_rcp_iflag_f32_e32 v3, v3
	v_mul_f32_e32 v3, 0x4f7ffffe, v3
	v_cvt_u32_f32_e32 v3, v3
	v_readfirstlane_b32 s1, v3
	s_mul_i32 s0, s0, s1
	s_mul_hi_u32 s0, s1, s0
	s_add_i32 s1, s1, s0
	s_mul_hi_u32 s0, s19, s1
	s_mul_i32 s31, s0, s36
	s_sub_i32 s31, s19, s31
	s_add_i32 s1, s0, 1
	s_sub_i32 s35, s31, s36
	s_cmp_ge_u32 s31, s36
	s_cselect_b32 s0, s1, s0
	s_cselect_b32 s31, s35, s31
	s_add_i32 s1, s0, 1
	s_cmp_ge_u32 s31, s36
	s_cselect_b32 s0, s1, s0
	s_mov_b32 s1, s34
.LBB0_5:                                ;   in Loop: Header=BB0_2 Depth=1
	s_mul_i32 s31, s0, s37
	s_mul_hi_u32 s35, s0, s36
	s_add_i32 s31, s35, s31
	s_mul_i32 s1, s1, s36
	s_add_i32 s31, s31, s1
	s_mul_i32 s1, s0, s36
	s_sub_u32 s1, s19, s1
	s_subb_u32 s19, 0, s31
	s_add_u32 s38, s14, s4
	s_addc_u32 s39, s15, s5
	s_load_dwordx2 s[38:39], s[38:39], 0x0
	s_mul_i32 s7, s7, s36
	s_waitcnt lgkmcnt(0)
	s_mul_i32 s31, s38, s19
	s_mul_hi_u32 s35, s38, s1
	s_add_i32 s31, s35, s31
	s_mul_i32 s35, s39, s1
	s_add_i32 s31, s31, s35
	s_mul_i32 s35, s38, s1
	s_add_u32 s27, s35, s27
	s_addc_u32 s41, s31, s41
	s_add_u32 s4, s28, s4
	s_addc_u32 s5, s29, s5
	s_load_dwordx2 s[4:5], s[4:5], 0x0
	s_waitcnt lgkmcnt(0)
	s_mul_i32 s19, s4, s19
	s_mul_hi_u32 s31, s4, s1
	s_add_i32 s19, s31, s19
	s_mul_i32 s5, s5, s1
	s_mov_b32 s31, s34
	s_add_i32 s19, s19, s5
	s_mul_i32 s1, s4, s1
	v_cmp_ge_u64_e32 vcc, s[30:31], v[1:2]
	s_add_u32 s2, s1, s2
	s_addc_u32 s3, s19, s3
	s_mov_b64 s[36:37], s[30:31]
	s_add_i32 s30, s30, 1
	s_cbranch_vccnz .LBB0_8
; %bb.6:                                ;   in Loop: Header=BB0_2 Depth=1
	s_mov_b32 s19, s0
	s_branch .LBB0_2
.LBB0_7:                                ;   in Loop: Header=BB0_2 Depth=1
                                        ; implicit-def: $sgpr0_sgpr1
	s_branch .LBB0_4
.LBB0_8:
	v_cvt_f32_u32_e32 v1, s7
	s_sub_i32 s0, 0, s7
	v_rcp_iflag_f32_e32 v1, v1
	v_mul_f32_e32 v1, 0x4f7ffffe, v1
	v_cvt_u32_f32_e32 v1, v1
	v_readfirstlane_b32 s1, v1
	s_mul_i32 s0, s0, s1
	s_mul_hi_u32 s0, s1, s0
	s_add_i32 s1, s1, s0
	s_mul_hi_u32 s0, s6, s1
	s_mul_i32 s1, s0, s7
	s_sub_i32 s1, s6, s1
	s_add_i32 s4, s0, 1
	s_sub_i32 s5, s1, s7
	s_cmp_ge_u32 s1, s7
	s_cselect_b32 s0, s4, s0
	s_cselect_b32 s1, s5, s1
	s_add_i32 s4, s0, 1
	s_cmp_ge_u32 s1, s7
	s_cselect_b32 s19, s4, s0
.LBB0_9:
	s_lshl_b64 s[0:1], s[10:11], 3
	s_add_u32 s4, s14, s0
	s_addc_u32 s5, s15, s1
	s_load_dwordx2 s[4:5], s[4:5], 0x0
	s_mov_b64 s[10:11], -1
	s_waitcnt lgkmcnt(0)
	s_mul_i32 s5, s5, s19
	s_mul_hi_u32 s6, s4, s19
	s_mul_i32 s4, s4, s19
	s_add_i32 s5, s6, s5
	s_add_u32 s6, s4, s27
	s_addc_u32 s7, s5, s41
	s_add_u32 s0, s28, s0
	s_addc_u32 s1, s29, s1
	s_load_dwordx2 s[0:1], s[0:1], 0x0
	s_add_i32 s4, s40, 8
	s_cmp_le_u32 s4, s33
	s_cselect_b64 s[4:5], -1, 0
	s_and_b64 vcc, exec, s[4:5]
	s_cbranch_vccnz .LBB0_14
; %bb.10:
	s_cmp_lt_u32 s40, s33
	s_cselect_b64 s[12:13], -1, 0
	s_and_saveexec_b64 s[10:11], s[12:13]
	s_cbranch_execz .LBB0_13
; %bb.11:
	v_mad_u64_u32 v[1:2], s[12:13], s24, v0, 0
	v_mov_b32_e32 v3, s40
	v_lshl_add_u32 v6, v0, 4, 0
	v_mad_u64_u32 v[4:5], s[12:13], s25, v0, v[2:3]
	s_lshl_b64 s[12:13], s[6:7], 4
	s_add_u32 s12, s20, s12
	v_mov_b32_e32 v2, v4
	v_lshlrev_b64 v[1:2], 4, v[1:2]
	s_addc_u32 s13, s21, s13
	v_mov_b32_e32 v5, s13
	v_add_co_u32_e32 v4, vcc, s12, v1
	v_addc_co_u32_e32 v5, vcc, v5, v2, vcc
	v_mov_b32_e32 v2, 0
	s_mov_b64 s[12:13], 0
	v_mov_b32_e32 v1, v2
.LBB0_12:                               ; =>This Inner Loop Header: Depth=1
	v_lshlrev_b64 v[7:8], 4, v[1:2]
	v_add_u32_e32 v3, 1, v3
	v_add_co_u32_e32 v7, vcc, v4, v7
	v_addc_co_u32_e32 v8, vcc, v5, v8, vcc
	global_load_dwordx4 v[7:10], v[7:8], off
	v_cmp_le_u32_e32 vcc, s33, v3
	v_add_u32_e32 v1, s26, v1
	s_or_b64 s[12:13], vcc, s[12:13]
	s_waitcnt vmcnt(0)
	ds_write_b128 v6, v[7:10]
	v_add_u32_e32 v6, 0x800, v6
	s_andn2_b64 exec, exec, s[12:13]
	s_cbranch_execnz .LBB0_12
.LBB0_13:
	s_or_b64 exec, exec, s[10:11]
	s_mov_b64 s[10:11], 0
.LBB0_14:
	s_andn2_b64 vcc, exec, s[10:11]
	s_cbranch_vccnz .LBB0_16
; %bb.15:
	v_mad_u64_u32 v[1:2], s[10:11], s24, v0, 0
	s_lshl_b64 s[6:7], s[6:7], 4
	s_add_u32 s6, s20, s6
	v_mad_u64_u32 v[2:3], s[10:11], s25, v0, v[2:3]
	s_addc_u32 s7, s21, s7
	v_mov_b32_e32 v3, s7
	v_lshlrev_b64 v[1:2], 4, v[1:2]
	s_mov_b32 s27, 0
	v_add_co_u32_e32 v9, vcc, s6, v1
	v_addc_co_u32_e32 v10, vcc, v3, v2, vcc
	s_lshl_b64 s[6:7], s[26:27], 4
	v_mov_b32_e32 v1, s7
	v_add_co_u32_e32 v11, vcc, s6, v9
	s_mov_b32 s7, s27
	s_add_i32 s6, s26, s26
	v_addc_co_u32_e32 v12, vcc, v10, v1, vcc
	s_lshl_b64 s[24:25], s[6:7], 4
	global_load_dwordx4 v[1:4], v[9:10], off
	global_load_dwordx4 v[5:8], v[11:12], off
	s_mov_b32 s11, s27
	s_add_i32 s10, s6, s26
	v_mov_b32_e32 v11, s25
	v_add_co_u32_e32 v33, vcc, s24, v9
	s_lshl_b64 s[6:7], s[10:11], 4
	v_addc_co_u32_e32 v34, vcc, v10, v11, vcc
	s_mov_b32 s13, s27
	s_add_i32 s12, s10, s26
	v_mov_b32_e32 v12, s7
	v_add_co_u32_e32 v35, vcc, s6, v9
	s_lshl_b64 s[10:11], s[12:13], 4
	v_addc_co_u32_e32 v36, vcc, v10, v12, vcc
	;; [unrolled: 6-line block ×4, first 2 shown]
	s_add_i32 s26, s20, s26
	v_mov_b32_e32 v15, s15
	v_add_co_u32_e32 v41, vcc, s14, v9
	s_lshl_b64 s[20:21], s[26:27], 4
	v_addc_co_u32_e32 v42, vcc, v10, v15, vcc
	v_mov_b32_e32 v16, s21
	v_add_co_u32_e32 v43, vcc, s20, v9
	v_addc_co_u32_e32 v44, vcc, v10, v16, vcc
	global_load_dwordx4 v[9:12], v[33:34], off
	global_load_dwordx4 v[13:16], v[35:36], off
	;; [unrolled: 1-line block ×6, first 2 shown]
	v_lshl_add_u32 v33, v0, 4, 0
	s_waitcnt vmcnt(7)
	ds_write_b128 v33, v[1:4]
	s_waitcnt vmcnt(6)
	ds_write_b128 v33, v[5:8] offset:2048
	s_waitcnt vmcnt(5)
	ds_write_b128 v33, v[9:12] offset:4096
	;; [unrolled: 2-line block ×7, first 2 shown]
.LBB0_16:
	v_and_b32_e32 v5, 15, v0
	v_lshlrev_b32_e32 v1, 7, v0
	v_and_b32_e32 v1, 0x3800, v1
	v_lshlrev_b32_e32 v3, 4, v5
	v_add_u32_e32 v4, 0, v1
	v_add3_u32 v1, 0, v3, v1
	s_waitcnt lgkmcnt(0)
	s_barrier
	v_add_u32_e32 v2, v4, v3
	ds_read_b128 v[6:9], v1 offset:1024
	ds_read_b128 v[10:13], v2
	ds_read_b128 v[14:17], v1 offset:1536
	ds_read_b128 v[18:21], v1 offset:256
	;; [unrolled: 1-line block ×6, first 2 shown]
	s_waitcnt lgkmcnt(6)
	v_add_f64 v[6:7], v[10:11], -v[6:7]
	v_add_f64 v[8:9], v[12:13], -v[8:9]
	s_waitcnt lgkmcnt(3)
	v_add_f64 v[22:23], v[18:19], -v[22:23]
	s_waitcnt lgkmcnt(2)
	v_add_f64 v[14:15], v[26:27], -v[14:15]
	v_add_f64 v[16:17], v[28:29], -v[16:17]
	s_waitcnt lgkmcnt(0)
	v_add_f64 v[36:37], v[32:33], -v[36:37]
	v_add_f64 v[24:25], v[20:21], -v[24:25]
	;; [unrolled: 1-line block ×3, first 2 shown]
	v_fma_f64 v[10:11], v[10:11], 2.0, -v[6:7]
	v_fma_f64 v[12:13], v[12:13], 2.0, -v[8:9]
	;; [unrolled: 1-line block ×5, first 2 shown]
	v_add_f64 v[38:39], v[6:7], -v[16:17]
	v_add_f64 v[16:17], v[22:23], -v[36:37]
	v_add_f64 v[40:41], v[8:9], v[14:15]
	v_add_f64 v[14:15], v[24:25], v[34:35]
	v_fma_f64 v[20:21], v[20:21], 2.0, -v[24:25]
	v_fma_f64 v[30:31], v[30:31], 2.0, -v[34:35]
	;; [unrolled: 1-line block ×3, first 2 shown]
	v_add_f64 v[42:43], v[10:11], -v[26:27]
	v_fma_f64 v[34:35], v[6:7], 2.0, -v[38:39]
	v_fma_f64 v[22:23], v[22:23], 2.0, -v[16:17]
	;; [unrolled: 1-line block ×4, first 2 shown]
	v_add_f64 v[44:45], v[12:13], -v[28:29]
	v_add_f64 v[24:25], v[18:19], -v[30:31]
	;; [unrolled: 1-line block ×3, first 2 shown]
	s_mov_b32 s6, 0x667f3bcd
	s_mov_b32 s7, 0xbfe6a09e
	v_fma_f64 v[8:9], v[22:23], s[6:7], v[34:35]
	v_fma_f64 v[30:31], v[10:11], 2.0, -v[42:43]
	v_fma_f64 v[28:29], v[6:7], s[6:7], v[36:37]
	v_fma_f64 v[32:33], v[12:13], 2.0, -v[44:45]
	v_fma_f64 v[10:11], v[18:19], 2.0, -v[24:25]
	;; [unrolled: 1-line block ×3, first 2 shown]
	s_mov_b32 s11, 0x3fe6a09e
	s_mov_b32 s10, s6
	v_fma_f64 v[18:19], v[16:17], s[10:11], v[38:39]
	v_fma_f64 v[6:7], v[6:7], s[6:7], v[8:9]
	;; [unrolled: 1-line block ×4, first 2 shown]
	v_add_f64 v[10:11], v[30:31], -v[10:11]
	v_add_f64 v[12:13], v[32:33], -v[12:13]
	v_add_f64 v[20:21], v[44:45], v[24:25]
	v_fma_f64 v[14:15], v[14:15], s[6:7], v[18:19]
	v_add_f64 v[18:19], v[42:43], -v[26:27]
	v_fma_f64 v[26:27], v[34:35], 2.0, -v[6:7]
	v_fma_f64 v[16:17], v[16:17], s[10:11], v[22:23]
	v_fma_f64 v[22:23], v[30:31], 2.0, -v[10:11]
	v_fma_f64 v[24:25], v[32:33], 2.0, -v[12:13]
	;; [unrolled: 1-line block ×6, first 2 shown]
	s_movk_i32 s6, 0x70
	v_fma_f64 v[36:37], v[40:41], 2.0, -v[16:17]
	v_mad_u32_u24 v3, v5, s6, v1
	s_barrier
	ds_write_b128 v3, v[22:25]
	ds_write_b128 v3, v[26:29] offset:16
	ds_write_b128 v3, v[30:33] offset:32
	;; [unrolled: 1-line block ×7, first 2 shown]
	v_and_b32_e32 v3, 7, v0
	v_mul_u32_u24_e32 v6, 3, v3
	v_lshlrev_b32_e32 v18, 4, v6
	s_waitcnt lgkmcnt(0)
	s_barrier
	global_load_dwordx4 v[6:9], v18, s[8:9]
	global_load_dwordx4 v[10:13], v18, s[8:9] offset:16
	global_load_dwordx4 v[14:17], v18, s[8:9] offset:32
	ds_read_b128 v[18:21], v1 offset:512
	ds_read_b128 v[22:25], v1 offset:768
	;; [unrolled: 1-line block ×4, first 2 shown]
	v_mul_u32_u24_e32 v42, 3, v5
	v_lshlrev_b32_e32 v40, 2, v0
	s_movk_i32 s6, 0x60
	v_and_or_b32 v41, v40, 32, v3
	v_or_b32_e32 v40, 64, v40
	v_lshl_add_u32 v45, v41, 4, v4
	v_lshlrev_b32_e32 v44, 4, v42
	s_waitcnt vmcnt(2) lgkmcnt(3)
	v_mul_f64 v[34:35], v[20:21], v[8:9]
	v_mul_f64 v[36:37], v[18:19], v[8:9]
	s_waitcnt lgkmcnt(2)
	v_mul_f64 v[38:39], v[24:25], v[8:9]
	v_mul_f64 v[8:9], v[22:23], v[8:9]
	v_fma_f64 v[34:35], v[18:19], v[6:7], -v[34:35]
	v_fma_f64 v[36:37], v[20:21], v[6:7], v[36:37]
	s_waitcnt vmcnt(1) lgkmcnt(1)
	v_mul_f64 v[18:19], v[28:29], v[12:13]
	v_mul_f64 v[20:21], v[26:27], v[12:13]
	v_fma_f64 v[22:23], v[22:23], v[6:7], -v[38:39]
	s_waitcnt lgkmcnt(0)
	v_mul_f64 v[38:39], v[32:33], v[12:13]
	v_mul_f64 v[12:13], v[30:31], v[12:13]
	v_fma_f64 v[24:25], v[24:25], v[6:7], v[8:9]
	ds_read_b128 v[5:8], v1 offset:1536
	v_fma_f64 v[26:27], v[26:27], v[10:11], -v[18:19]
	v_fma_f64 v[28:29], v[28:29], v[10:11], v[20:21]
	ds_read_b128 v[18:21], v1 offset:1792
	v_fma_f64 v[30:31], v[30:31], v[10:11], -v[38:39]
	v_fma_f64 v[12:13], v[32:33], v[10:11], v[12:13]
	s_waitcnt vmcnt(0) lgkmcnt(1)
	v_mul_f64 v[9:10], v[7:8], v[16:17]
	v_mul_f64 v[32:33], v[5:6], v[16:17]
	s_waitcnt lgkmcnt(0)
	v_mul_f64 v[38:39], v[20:21], v[16:17]
	v_mul_f64 v[16:17], v[18:19], v[16:17]
	v_and_or_b32 v11, v40, s6, v3
	v_lshl_add_u32 v46, v11, 4, v4
	v_fma_f64 v[40:41], v[5:6], v[14:15], -v[9:10]
	v_fma_f64 v[32:33], v[7:8], v[14:15], v[32:33]
	v_fma_f64 v[18:19], v[18:19], v[14:15], -v[38:39]
	v_fma_f64 v[14:15], v[20:21], v[14:15], v[16:17]
	ds_read_b128 v[4:7], v2
	ds_read_b128 v[8:11], v1 offset:256
	s_waitcnt lgkmcnt(0)
	s_barrier
	v_add_f64 v[20:21], v[4:5], -v[26:27]
	v_add_f64 v[26:27], v[6:7], -v[28:29]
	;; [unrolled: 1-line block ×8, first 2 shown]
	v_fma_f64 v[32:33], v[4:5], 2.0, -v[20:21]
	v_fma_f64 v[38:39], v[6:7], 2.0, -v[26:27]
	;; [unrolled: 1-line block ×8, first 2 shown]
	v_add_f64 v[4:5], v[20:21], -v[16:17]
	v_add_f64 v[6:7], v[26:27], v[12:13]
	v_add_f64 v[8:9], v[28:29], -v[14:15]
	v_add_f64 v[10:11], v[30:31], v[18:19]
	v_add_f64 v[12:13], v[32:33], -v[34:35]
	v_add_f64 v[14:15], v[38:39], -v[36:37]
	;; [unrolled: 1-line block ×4, first 2 shown]
	v_fma_f64 v[20:21], v[20:21], 2.0, -v[4:5]
	v_fma_f64 v[22:23], v[26:27], 2.0, -v[6:7]
	v_fma_f64 v[24:25], v[28:29], 2.0, -v[8:9]
	v_fma_f64 v[26:27], v[30:31], 2.0, -v[10:11]
	v_fma_f64 v[28:29], v[32:33], 2.0, -v[12:13]
	v_fma_f64 v[30:31], v[38:39], 2.0, -v[14:15]
	v_fma_f64 v[32:33], v[40:41], 2.0, -v[16:17]
	v_fma_f64 v[34:35], v[42:43], 2.0, -v[18:19]
	ds_write_b128 v45, v[4:7] offset:384
	ds_write_b128 v46, v[8:11] offset:384
	;; [unrolled: 1-line block ×6, first 2 shown]
	ds_write_b128 v45, v[28:31]
	ds_write_b128 v46, v[32:35]
	s_waitcnt lgkmcnt(0)
	s_barrier
	global_load_dwordx4 v[4:7], v44, s[8:9] offset:384
	global_load_dwordx4 v[8:11], v44, s[8:9] offset:400
	global_load_dwordx4 v[12:15], v44, s[8:9] offset:416
	ds_read_b128 v[16:19], v1 offset:512
	ds_read_b128 v[20:23], v1 offset:768
	;; [unrolled: 1-line block ×4, first 2 shown]
	s_waitcnt vmcnt(2) lgkmcnt(3)
	v_mul_f64 v[32:33], v[18:19], v[6:7]
	v_mul_f64 v[6:7], v[16:17], v[6:7]
	s_waitcnt vmcnt(1) lgkmcnt(1)
	v_mul_f64 v[34:35], v[26:27], v[10:11]
	v_mul_f64 v[10:11], v[24:25], v[10:11]
	v_fma_f64 v[32:33], v[16:17], v[4:5], -v[32:33]
	v_fma_f64 v[36:37], v[18:19], v[4:5], v[6:7]
	ds_read_b128 v[4:7], v1 offset:1536
	global_load_dwordx4 v[16:19], v44, s[8:9] offset:1152
	v_fma_f64 v[24:25], v[24:25], v[8:9], -v[34:35]
	v_fma_f64 v[26:27], v[26:27], v[8:9], v[10:11]
	ds_read_b128 v[8:11], v1 offset:1792
	s_waitcnt vmcnt(1) lgkmcnt(1)
	v_mul_f64 v[34:35], v[6:7], v[14:15]
	v_mul_f64 v[14:15], v[4:5], v[14:15]
	v_fma_f64 v[34:35], v[4:5], v[12:13], -v[34:35]
	v_fma_f64 v[38:39], v[6:7], v[12:13], v[14:15]
	global_load_dwordx4 v[4:7], v44, s[8:9] offset:1168
	global_load_dwordx4 v[12:15], v44, s[8:9] offset:1184
	s_waitcnt vmcnt(2)
	v_mul_f64 v[40:41], v[22:23], v[18:19]
	v_mul_f64 v[18:19], v[20:21], v[18:19]
	v_fma_f64 v[20:21], v[20:21], v[16:17], -v[40:41]
	v_fma_f64 v[18:19], v[22:23], v[16:17], v[18:19]
	v_or_b32_e32 v22, s40, v3
	v_cmp_gt_u32_e32 vcc, s33, v22
	s_or_b64 s[4:5], s[4:5], vcc
	s_waitcnt vmcnt(1)
	v_mul_f64 v[16:17], v[30:31], v[6:7]
	v_mul_f64 v[6:7], v[28:29], v[6:7]
	s_waitcnt vmcnt(0) lgkmcnt(0)
	v_mul_f64 v[22:23], v[10:11], v[14:15]
	v_mul_f64 v[40:41], v[8:9], v[14:15]
	v_fma_f64 v[28:29], v[28:29], v[4:5], -v[16:17]
	v_fma_f64 v[30:31], v[30:31], v[4:5], v[6:7]
	v_fma_f64 v[8:9], v[8:9], v[12:13], -v[22:23]
	v_fma_f64 v[10:11], v[10:11], v[12:13], v[40:41]
	ds_read_b128 v[4:7], v2
	ds_read_b128 v[14:17], v1 offset:256
	v_add_f64 v[12:13], v[32:33], -v[34:35]
	s_waitcnt lgkmcnt(0)
	s_barrier
	v_add_f64 v[22:23], v[4:5], -v[24:25]
	v_add_f64 v[24:25], v[6:7], -v[26:27]
	;; [unrolled: 1-line block ×7, first 2 shown]
	v_fma_f64 v[38:39], v[4:5], 2.0, -v[22:23]
	v_fma_f64 v[40:41], v[6:7], 2.0, -v[24:25]
	;; [unrolled: 1-line block ×8, first 2 shown]
	v_add_f64 v[4:5], v[22:23], -v[30:31]
	v_add_f64 v[6:7], v[24:25], v[12:13]
	v_add_f64 v[8:9], v[26:27], -v[8:9]
	v_add_f64 v[10:11], v[28:29], v[34:35]
	v_add_f64 v[12:13], v[38:39], -v[14:15]
	v_add_f64 v[14:15], v[40:41], -v[16:17]
	;; [unrolled: 1-line block ×4, first 2 shown]
	v_fma_f64 v[20:21], v[22:23], 2.0, -v[4:5]
	v_fma_f64 v[22:23], v[24:25], 2.0, -v[6:7]
	;; [unrolled: 1-line block ×8, first 2 shown]
	ds_write_b128 v1, v[4:7] offset:1536
	ds_write_b128 v1, v[8:11] offset:1792
	;; [unrolled: 1-line block ×6, first 2 shown]
	ds_write_b128 v1, v[28:31]
	ds_write_b128 v1, v[32:35] offset:256
	s_waitcnt lgkmcnt(0)
	s_barrier
	s_and_saveexec_b64 s[6:7], s[4:5]
	s_cbranch_execz .LBB0_18
; %bb.17:
	v_mad_u64_u32 v[4:5], s[4:5], s16, v3, 0
	s_mul_i32 s1, s1, s19
	s_mul_hi_u32 s6, s0, s19
	v_mov_b32_e32 v1, v5
	v_mad_u64_u32 v[1:2], s[4:5], s17, v3, v[1:2]
	s_add_i32 s1, s6, s1
	s_mul_i32 s0, s0, s19
	s_lshl_b64 s[0:1], s[0:1], 4
	v_lshrrev_b32_e32 v0, 3, v0
	s_add_u32 s4, s22, s0
	v_mov_b32_e32 v5, v1
	v_mul_lo_u32 v8, v0, s18
	v_lshlrev_b32_e32 v6, 11, v3
	v_lshlrev_b32_e32 v7, 4, v0
	s_addc_u32 s5, s23, s1
	s_lshl_b64 s[0:1], s[2:3], 4
	v_or_b32_e32 v0, v6, v7
	s_add_u32 s0, s4, s0
	v_lshlrev_b64 v[4:5], 4, v[4:5]
	v_add_u32_e32 v0, 0, v0
	s_addc_u32 s1, s5, s1
	v_mov_b32_e32 v9, 0
	ds_read_b128 v[0:3], v0
	v_mov_b32_e32 v10, s1
	v_add_co_u32_e32 v12, vcc, s0, v4
	v_addc_co_u32_e32 v13, vcc, v10, v5, vcc
	v_lshlrev_b64 v[4:5], 4, v[8:9]
	v_add3_u32 v14, 0, v6, v7
	v_add_co_u32_e32 v10, vcc, v12, v4
	s_lshl_b32 s0, s18, 4
	v_addc_co_u32_e32 v11, vcc, v13, v5, vcc
	ds_read_b128 v[4:7], v14 offset:256
	v_add_u32_e32 v8, s0, v8
	s_waitcnt lgkmcnt(1)
	global_store_dwordx4 v[10:11], v[0:3], off
	s_nop 0
	v_lshlrev_b64 v[0:1], 4, v[8:9]
	v_add_u32_e32 v8, s0, v8
	v_add_co_u32_e32 v0, vcc, v12, v0
	v_addc_co_u32_e32 v1, vcc, v13, v1, vcc
	s_waitcnt lgkmcnt(0)
	global_store_dwordx4 v[0:1], v[4:7], off
	ds_read_b128 v[0:3], v14 offset:512
	v_lshlrev_b64 v[4:5], 4, v[8:9]
	v_add_u32_e32 v8, s0, v8
	v_add_co_u32_e32 v10, vcc, v12, v4
	v_addc_co_u32_e32 v11, vcc, v13, v5, vcc
	ds_read_b128 v[4:7], v14 offset:768
	s_waitcnt lgkmcnt(1)
	global_store_dwordx4 v[10:11], v[0:3], off
	s_nop 0
	v_lshlrev_b64 v[0:1], 4, v[8:9]
	v_add_u32_e32 v8, s0, v8
	v_add_co_u32_e32 v0, vcc, v12, v0
	v_addc_co_u32_e32 v1, vcc, v13, v1, vcc
	s_waitcnt lgkmcnt(0)
	global_store_dwordx4 v[0:1], v[4:7], off
	ds_read_b128 v[0:3], v14 offset:1024
	v_lshlrev_b64 v[4:5], 4, v[8:9]
	v_add_u32_e32 v8, s0, v8
	v_add_co_u32_e32 v10, vcc, v12, v4
	v_addc_co_u32_e32 v11, vcc, v13, v5, vcc
	ds_read_b128 v[4:7], v14 offset:1280
	;; [unrolled: 15-line block ×3, first 2 shown]
	s_waitcnt lgkmcnt(1)
	global_store_dwordx4 v[10:11], v[0:3], off
	s_nop 0
	v_lshlrev_b64 v[0:1], 4, v[8:9]
	v_add_co_u32_e32 v0, vcc, v12, v0
	v_addc_co_u32_e32 v1, vcc, v13, v1, vcc
	s_waitcnt lgkmcnt(0)
	global_store_dwordx4 v[0:1], v[4:7], off
.LBB0_18:
	s_endpgm
	.section	.rodata,"a",@progbits
	.p2align	6, 0x0
	.amdhsa_kernel fft_rtc_fwd_len128_factors_8_4_4_wgs_128_tpt_16_dp_op_CI_CI_sbrc_unaligned
		.amdhsa_group_segment_fixed_size 0
		.amdhsa_private_segment_fixed_size 0
		.amdhsa_kernarg_size 104
		.amdhsa_user_sgpr_count 6
		.amdhsa_user_sgpr_private_segment_buffer 1
		.amdhsa_user_sgpr_dispatch_ptr 0
		.amdhsa_user_sgpr_queue_ptr 0
		.amdhsa_user_sgpr_kernarg_segment_ptr 1
		.amdhsa_user_sgpr_dispatch_id 0
		.amdhsa_user_sgpr_flat_scratch_init 0
		.amdhsa_user_sgpr_private_segment_size 0
		.amdhsa_uses_dynamic_stack 0
		.amdhsa_system_sgpr_private_segment_wavefront_offset 0
		.amdhsa_system_sgpr_workgroup_id_x 1
		.amdhsa_system_sgpr_workgroup_id_y 0
		.amdhsa_system_sgpr_workgroup_id_z 0
		.amdhsa_system_sgpr_workgroup_info 0
		.amdhsa_system_vgpr_workitem_id 0
		.amdhsa_next_free_vgpr 47
		.amdhsa_next_free_sgpr 45
		.amdhsa_reserve_vcc 1
		.amdhsa_reserve_flat_scratch 0
		.amdhsa_float_round_mode_32 0
		.amdhsa_float_round_mode_16_64 0
		.amdhsa_float_denorm_mode_32 3
		.amdhsa_float_denorm_mode_16_64 3
		.amdhsa_dx10_clamp 1
		.amdhsa_ieee_mode 1
		.amdhsa_fp16_overflow 0
		.amdhsa_exception_fp_ieee_invalid_op 0
		.amdhsa_exception_fp_denorm_src 0
		.amdhsa_exception_fp_ieee_div_zero 0
		.amdhsa_exception_fp_ieee_overflow 0
		.amdhsa_exception_fp_ieee_underflow 0
		.amdhsa_exception_fp_ieee_inexact 0
		.amdhsa_exception_int_div_zero 0
	.end_amdhsa_kernel
	.text
.Lfunc_end0:
	.size	fft_rtc_fwd_len128_factors_8_4_4_wgs_128_tpt_16_dp_op_CI_CI_sbrc_unaligned, .Lfunc_end0-fft_rtc_fwd_len128_factors_8_4_4_wgs_128_tpt_16_dp_op_CI_CI_sbrc_unaligned
                                        ; -- End function
	.section	.AMDGPU.csdata,"",@progbits
; Kernel info:
; codeLenInByte = 4200
; NumSgprs: 49
; NumVgprs: 47
; ScratchSize: 0
; MemoryBound: 0
; FloatMode: 240
; IeeeMode: 1
; LDSByteSize: 0 bytes/workgroup (compile time only)
; SGPRBlocks: 6
; VGPRBlocks: 11
; NumSGPRsForWavesPerEU: 49
; NumVGPRsForWavesPerEU: 47
; Occupancy: 5
; WaveLimiterHint : 1
; COMPUTE_PGM_RSRC2:SCRATCH_EN: 0
; COMPUTE_PGM_RSRC2:USER_SGPR: 6
; COMPUTE_PGM_RSRC2:TRAP_HANDLER: 0
; COMPUTE_PGM_RSRC2:TGID_X_EN: 1
; COMPUTE_PGM_RSRC2:TGID_Y_EN: 0
; COMPUTE_PGM_RSRC2:TGID_Z_EN: 0
; COMPUTE_PGM_RSRC2:TIDIG_COMP_CNT: 0
	.type	__hip_cuid_5eadeefaf043c5ed,@object ; @__hip_cuid_5eadeefaf043c5ed
	.section	.bss,"aw",@nobits
	.globl	__hip_cuid_5eadeefaf043c5ed
__hip_cuid_5eadeefaf043c5ed:
	.byte	0                               ; 0x0
	.size	__hip_cuid_5eadeefaf043c5ed, 1

	.ident	"AMD clang version 19.0.0git (https://github.com/RadeonOpenCompute/llvm-project roc-6.4.0 25133 c7fe45cf4b819c5991fe208aaa96edf142730f1d)"
	.section	".note.GNU-stack","",@progbits
	.addrsig
	.addrsig_sym __hip_cuid_5eadeefaf043c5ed
	.amdgpu_metadata
---
amdhsa.kernels:
  - .args:
      - .actual_access:  read_only
        .address_space:  global
        .offset:         0
        .size:           8
        .value_kind:     global_buffer
      - .offset:         8
        .size:           8
        .value_kind:     by_value
      - .actual_access:  read_only
        .address_space:  global
        .offset:         16
        .size:           8
        .value_kind:     global_buffer
      - .actual_access:  read_only
        .address_space:  global
        .offset:         24
        .size:           8
        .value_kind:     global_buffer
      - .actual_access:  read_only
        .address_space:  global
        .offset:         32
        .size:           8
        .value_kind:     global_buffer
      - .offset:         40
        .size:           8
        .value_kind:     by_value
      - .actual_access:  read_only
        .address_space:  global
        .offset:         48
        .size:           8
        .value_kind:     global_buffer
      - .actual_access:  read_only
        .address_space:  global
        .offset:         56
        .size:           8
        .value_kind:     global_buffer
      - .offset:         64
        .size:           4
        .value_kind:     by_value
      - .actual_access:  read_only
        .address_space:  global
        .offset:         72
        .size:           8
        .value_kind:     global_buffer
      - .actual_access:  read_only
        .address_space:  global
        .offset:         80
        .size:           8
        .value_kind:     global_buffer
      - .actual_access:  read_only
        .address_space:  global
        .offset:         88
        .size:           8
        .value_kind:     global_buffer
      - .actual_access:  write_only
        .address_space:  global
        .offset:         96
        .size:           8
        .value_kind:     global_buffer
    .group_segment_fixed_size: 0
    .kernarg_segment_align: 8
    .kernarg_segment_size: 104
    .language:       OpenCL C
    .language_version:
      - 2
      - 0
    .max_flat_workgroup_size: 128
    .name:           fft_rtc_fwd_len128_factors_8_4_4_wgs_128_tpt_16_dp_op_CI_CI_sbrc_unaligned
    .private_segment_fixed_size: 0
    .sgpr_count:     49
    .sgpr_spill_count: 0
    .symbol:         fft_rtc_fwd_len128_factors_8_4_4_wgs_128_tpt_16_dp_op_CI_CI_sbrc_unaligned.kd
    .uniform_work_group_size: 1
    .uses_dynamic_stack: false
    .vgpr_count:     47
    .vgpr_spill_count: 0
    .wavefront_size: 64
amdhsa.target:   amdgcn-amd-amdhsa--gfx906
amdhsa.version:
  - 1
  - 2
...

	.end_amdgpu_metadata
